;; amdgpu-corpus repo=ROCm/rocFFT kind=compiled arch=gfx1201 opt=O3
	.text
	.amdgcn_target "amdgcn-amd-amdhsa--gfx1201"
	.amdhsa_code_object_version 6
	.protected	bluestein_single_fwd_len28_dim1_sp_op_CI_CI ; -- Begin function bluestein_single_fwd_len28_dim1_sp_op_CI_CI
	.globl	bluestein_single_fwd_len28_dim1_sp_op_CI_CI
	.p2align	8
	.type	bluestein_single_fwd_len28_dim1_sp_op_CI_CI,@function
bluestein_single_fwd_len28_dim1_sp_op_CI_CI: ; @bluestein_single_fwd_len28_dim1_sp_op_CI_CI
; %bb.0:
	s_load_b128 s[16:19], s[0:1], 0x28
	v_lshrrev_b32_e32 v1, 2, v0
	v_mov_b32_e32 v21, 0
	s_mov_b32 s2, exec_lo
	s_delay_alu instid0(VALU_DEP_2) | instskip(SKIP_1) | instid1(VALU_DEP_1)
	v_lshl_or_b32 v20, ttmp9, 4, v1
	s_wait_kmcnt 0x0
	v_cmpx_gt_u64_e64 s[16:17], v[20:21]
	s_cbranch_execz .LBB0_10
; %bb.1:
	s_clause 0x1
	s_load_b128 s[4:7], s[0:1], 0x18
	s_load_b128 s[8:11], s[0:1], 0x0
	v_mul_u32_u24_e32 v50, 28, v1
	s_wait_kmcnt 0x0
	s_load_b128 s[12:15], s[4:5], 0x0
	s_wait_kmcnt 0x0
	v_mad_co_u64_u32 v[2:3], null, s14, v20, 0
	v_and_b32_e32 v45, 3, v0
	s_lshl_b64 s[2:3], s[12:13], 5
	s_delay_alu instid0(VALU_DEP_2) | instskip(NEXT) | instid1(VALU_DEP_2)
	v_mov_b32_e32 v0, v3
	v_mad_co_u64_u32 v[4:5], null, s12, v45, 0
	v_lshlrev_b32_e32 v48, 3, v45
	s_clause 0x3
	global_load_b64 v[21:22], v48, s[8:9]
	global_load_b64 v[23:24], v48, s[8:9] offset:32
	global_load_b64 v[25:26], v48, s[8:9] offset:64
	;; [unrolled: 1-line block ×3, first 2 shown]
	v_mov_b32_e32 v3, v5
	v_mad_co_u64_u32 v[5:6], null, s15, v20, v[0:1]
	global_load_b64 v[27:28], v48, s[8:9] offset:128
	v_lshl_or_b32 v46, v50, 3, v48
	v_mad_co_u64_u32 v[6:7], null, s13, v45, v[3:4]
	v_mov_b32_e32 v3, v5
	s_delay_alu instid0(VALU_DEP_2) | instskip(NEXT) | instid1(VALU_DEP_2)
	v_mov_b32_e32 v5, v6
	v_lshlrev_b64_e32 v[2:3], 3, v[2:3]
	s_delay_alu instid0(VALU_DEP_2) | instskip(NEXT) | instid1(VALU_DEP_2)
	v_lshlrev_b64_e32 v[4:5], 3, v[4:5]
	v_add_co_u32 v0, vcc_lo, s18, v2
	s_delay_alu instid0(VALU_DEP_3) | instskip(NEXT) | instid1(VALU_DEP_2)
	v_add_co_ci_u32_e32 v3, vcc_lo, s19, v3, vcc_lo
	v_add_co_u32 v2, vcc_lo, v0, v4
	s_wait_alu 0xfffd
	s_delay_alu instid0(VALU_DEP_2) | instskip(SKIP_1) | instid1(VALU_DEP_3)
	v_add_co_ci_u32_e32 v3, vcc_lo, v3, v5, vcc_lo
	v_or_b32_e32 v0, v50, v45
	v_add_co_u32 v4, vcc_lo, v2, s2
	s_wait_alu 0xfffd
	s_delay_alu instid0(VALU_DEP_3)
	v_add_co_ci_u32_e32 v5, vcc_lo, s3, v3, vcc_lo
	global_load_b64 v[2:3], v[2:3], off
	v_add_co_u32 v6, vcc_lo, v4, s2
	s_wait_alu 0xfffd
	v_add_co_ci_u32_e32 v7, vcc_lo, s3, v5, vcc_lo
	global_load_b64 v[4:5], v[4:5], off
	v_add_co_u32 v8, vcc_lo, v6, s2
	s_wait_alu 0xfffd
	v_add_co_ci_u32_e32 v9, vcc_lo, s3, v7, vcc_lo
	s_delay_alu instid0(VALU_DEP_2) | instskip(SKIP_1) | instid1(VALU_DEP_2)
	v_add_co_u32 v10, vcc_lo, v8, s2
	s_wait_alu 0xfffd
	v_add_co_ci_u32_e32 v11, vcc_lo, s3, v9, vcc_lo
	s_clause 0x1
	global_load_b64 v[6:7], v[6:7], off
	global_load_b64 v[8:9], v[8:9], off
	v_add_co_u32 v12, vcc_lo, v10, s2
	s_wait_alu 0xfffd
	v_add_co_ci_u32_e32 v13, vcc_lo, s3, v11, vcc_lo
	global_load_b64 v[10:11], v[10:11], off
	v_add_co_u32 v14, vcc_lo, v12, s2
	s_wait_alu 0xfffd
	v_add_co_ci_u32_e32 v15, vcc_lo, s3, v13, vcc_lo
	global_load_b64 v[12:13], v[12:13], off
	s_clause 0x1
	global_load_b64 v[31:32], v48, s[8:9] offset:160
	global_load_b64 v[33:34], v48, s[8:9] offset:192
	global_load_b64 v[14:15], v[14:15], off
	s_load_b128 s[4:7], s[6:7], 0x0
	s_load_b64 s[2:3], s[0:1], 0x38
	v_add_co_u32 v39, s0, s8, v48
	s_wait_alu 0xf1ff
	v_add_co_ci_u32_e64 v40, null, s9, 0, s0
	v_cmp_eq_u32_e64 s0, 3, v45
	v_cmp_ne_u32_e32 vcc_lo, 3, v45
	s_wait_loadcnt 0x7
	v_dual_mul_f32 v1, v2, v22 :: v_dual_mul_f32 v16, v5, v24
	v_dual_mul_f32 v0, v3, v22 :: v_dual_lshlrev_b32 v47, 3, v0
	v_mul_f32_e32 v17, v4, v24
	s_delay_alu instid0(VALU_DEP_3) | instskip(NEXT) | instid1(VALU_DEP_4)
	v_fma_f32 v1, v3, v21, -v1
	v_fmac_f32_e32 v16, v4, v23
	s_delay_alu instid0(VALU_DEP_4)
	v_fmac_f32_e32 v0, v2, v21
	s_wait_loadcnt 0x6
	v_mul_f32_e32 v2, v7, v26
	v_mul_f32_e32 v3, v6, v26
	v_fma_f32 v17, v5, v23, -v17
	s_wait_loadcnt 0x5
	v_mul_f32_e32 v4, v9, v30
	v_dual_mul_f32 v5, v8, v30 :: v_dual_fmac_f32 v2, v6, v25
	s_wait_loadcnt 0x4
	v_mul_f32_e32 v6, v11, v28
	v_fma_f32 v3, v7, v25, -v3
	v_dual_mul_f32 v7, v10, v28 :: v_dual_fmac_f32 v4, v8, v29
	v_fma_f32 v5, v9, v29, -v5
	s_wait_loadcnt 0x2
	v_dual_fmac_f32 v6, v10, v27 :: v_dual_mul_f32 v9, v12, v32
	v_mul_f32_e32 v8, v13, v32
	s_wait_loadcnt 0x0
	v_mul_f32_e32 v10, v15, v34
	v_mul_f32_e32 v18, v14, v34
	v_fma_f32 v7, v11, v27, -v7
	v_fma_f32 v9, v13, v31, -v9
	v_fmac_f32_e32 v8, v12, v31
	v_fmac_f32_e32 v10, v14, v33
	v_fma_f32 v11, v15, v33, -v18
	ds_store_b64 v47, v[0:1]
	ds_store_2addr_b64 v46, v[16:17], v[2:3] offset0:4 offset1:8
	ds_store_2addr_b64 v46, v[4:5], v[6:7] offset0:12 offset1:16
	;; [unrolled: 1-line block ×3, first 2 shown]
	global_wb scope:SCOPE_SE
	s_wait_dscnt 0x0
	s_wait_kmcnt 0x0
	s_barrier_signal -1
	s_barrier_wait -1
	global_inv scope:SCOPE_SE
	ds_load_2addr_b64 v[0:3], v46 offset0:4 offset1:8
	ds_load_2addr_b64 v[4:7], v46 offset0:20 offset1:24
	;; [unrolled: 1-line block ×3, first 2 shown]
	v_mul_u32_u24_e32 v12, 7, v45
	s_delay_alu instid0(VALU_DEP_1)
	v_add_lshl_u32 v49, v50, v12, 3
	ds_load_b64 v[12:13], v47
	global_wb scope:SCOPE_SE
	s_wait_dscnt 0x0
	s_barrier_signal -1
	s_barrier_wait -1
	global_inv scope:SCOPE_SE
	v_add_f32_e32 v15, v1, v7
	v_sub_f32_e32 v1, v1, v7
	v_dual_add_f32 v7, v3, v5 :: v_dual_add_f32 v14, v0, v6
	v_dual_sub_f32 v0, v0, v6 :: v_dual_sub_f32 v3, v3, v5
	v_add_f32_e32 v5, v9, v11
	s_delay_alu instid0(VALU_DEP_3) | instskip(SKIP_3) | instid1(VALU_DEP_4)
	v_dual_sub_f32 v17, v7, v15 :: v_dual_add_f32 v6, v2, v4
	v_dual_sub_f32 v2, v2, v4 :: v_dual_sub_f32 v9, v11, v9
	v_add_f32_e32 v4, v8, v10
	v_dual_sub_f32 v8, v10, v8 :: v_dual_add_f32 v11, v7, v15
	v_dual_sub_f32 v15, v15, v5 :: v_dual_add_f32 v10, v6, v14
	v_dual_sub_f32 v16, v6, v14 :: v_dual_sub_f32 v7, v5, v7
	s_delay_alu instid0(VALU_DEP_3)
	v_add_f32_e32 v5, v5, v11
	v_add_f32_e32 v19, v9, v3
	v_sub_f32_e32 v36, v9, v3
	v_dual_sub_f32 v9, v1, v9 :: v_dual_sub_f32 v14, v14, v4
	v_sub_f32_e32 v35, v8, v2
	v_dual_add_f32 v18, v8, v2 :: v_dual_mul_f32 v15, 0x3f4a47b2, v15
	v_sub_f32_e32 v2, v2, v0
	v_dual_sub_f32 v6, v4, v6 :: v_dual_add_f32 v11, v19, v1
	v_dual_sub_f32 v8, v0, v8 :: v_dual_mul_f32 v19, 0x3d64c772, v7
	v_dual_sub_f32 v3, v3, v1 :: v_dual_add_f32 v4, v4, v10
	v_add_f32_e32 v1, v13, v5
	v_mul_f32_e32 v35, 0xbf08b237, v35
	v_mul_f32_e32 v37, 0x3f5ff5aa, v2
	v_mul_f32_e32 v36, 0xbf08b237, v36
	v_dual_add_f32 v10, v18, v0 :: v_dual_fmamk_f32 v7, v7, 0x3d64c772, v15
	v_mul_f32_e32 v38, 0x3f5ff5aa, v3
	v_fma_f32 v13, 0x3f3bfb3b, v17, -v19
	s_delay_alu instid0(VALU_DEP_4)
	v_fma_f32 v19, 0x3f5ff5aa, v3, -v36
	v_fmamk_f32 v3, v5, 0xbf955555, v1
	v_mul_f32_e32 v18, 0x3d64c772, v6
	v_add_f32_e32 v0, v12, v4
	v_fma_f32 v15, 0xbf3bfb3b, v17, -v15
	v_fmamk_f32 v17, v9, 0x3eae86e6, v36
	v_mul_f32_e32 v14, 0x3f4a47b2, v14
	v_fma_f32 v36, 0xbeae86e6, v9, -v38
	v_add_f32_e32 v9, v13, v3
	v_fma_f32 v12, 0x3f3bfb3b, v16, -v18
	v_fma_f32 v18, 0x3f5ff5aa, v2, -v35
	v_fmac_f32_e32 v17, 0x3ee1c552, v11
	v_fmac_f32_e32 v19, 0x3ee1c552, v11
	;; [unrolled: 1-line block ×3, first 2 shown]
	v_dual_add_f32 v11, v15, v3 :: v_dual_fmamk_f32 v6, v6, 0x3d64c772, v14
	v_fma_f32 v14, 0xbf3bfb3b, v16, -v14
	v_fmac_f32_e32 v18, 0x3ee1c552, v10
	v_fmamk_f32 v16, v8, 0x3eae86e6, v35
	v_fma_f32 v35, 0xbeae86e6, v8, -v37
	s_delay_alu instid0(VALU_DEP_3) | instskip(SKIP_1) | instid1(VALU_DEP_3)
	v_dual_add_f32 v38, v7, v3 :: v_dual_add_f32 v7, v18, v9
	v_sub_f32_e32 v9, v9, v18
	v_fmac_f32_e32 v35, 0x3ee1c552, v10
	s_delay_alu instid0(VALU_DEP_1) | instskip(SKIP_1) | instid1(VALU_DEP_2)
	v_dual_fmac_f32 v16, 0x3ee1c552, v10 :: v_dual_sub_f32 v5, v11, v35
	v_dual_add_f32 v11, v35, v11 :: v_dual_fmamk_f32 v2, v4, 0xbf955555, v0
	v_sub_f32_e32 v3, v38, v16
	v_add_f32_e32 v13, v16, v38
	s_delay_alu instid0(VALU_DEP_3) | instskip(SKIP_2) | instid1(VALU_DEP_3)
	v_add_f32_e32 v37, v6, v2
	v_add_f32_e32 v8, v12, v2
	;; [unrolled: 1-line block ×4, first 2 shown]
	s_delay_alu instid0(VALU_DEP_3) | instskip(NEXT) | instid1(VALU_DEP_3)
	v_sub_f32_e32 v6, v8, v19
	v_add_f32_e32 v4, v36, v10
	v_add_f32_e32 v8, v19, v8
	v_sub_f32_e32 v10, v10, v36
	v_sub_f32_e32 v12, v37, v17
	ds_store_2addr_b64 v49, v[0:1], v[2:3] offset1:1
	ds_store_2addr_b64 v49, v[4:5], v[6:7] offset0:2 offset1:3
	ds_store_2addr_b64 v49, v[8:9], v[10:11] offset0:4 offset1:5
	ds_store_b64 v49, v[12:13] offset:48
	global_wb scope:SCOPE_SE
	s_wait_dscnt 0x0
	s_barrier_signal -1
	s_barrier_wait -1
	global_inv scope:SCOPE_SE
	ds_load_2addr_b64 v[16:19], v46 offset0:7 offset1:14
	ds_load_b64 v[41:42], v47
	ds_load_b64 v[43:44], v46 offset:168
	s_and_saveexec_b32 s1, vcc_lo
	s_cbranch_execz .LBB0_3
; %bb.2:
	ds_load_2addr_b64 v[8:11], v46 offset0:4 offset1:11
	ds_load_2addr_b64 v[12:15], v46 offset0:18 offset1:25
.LBB0_3:
	s_wait_alu 0xfffe
	s_or_b32 exec_lo, exec_lo, s1
	v_mad_co_u64_u32 v[0:1], null, v45, 24, s[10:11]
	v_or_b32_e32 v2, 4, v45
	s_delay_alu instid0(VALU_DEP_1)
	v_mul_hi_u32_u24_e32 v3, 3, v2
	v_mul_u32_u24_e32 v2, 3, v2
	s_clause 0x1
	global_load_b128 v[4:7], v[0:1], off
	global_load_b64 v[37:38], v[0:1], off offset:16
	v_cndmask_b32_e64 v1, v3, 0, s0
	v_cndmask_b32_e64 v0, v2, 0, s0
	s_delay_alu instid0(VALU_DEP_1) | instskip(NEXT) | instid1(VALU_DEP_1)
	v_lshlrev_b64_e32 v[0:1], 3, v[0:1]
	v_add_co_u32 v35, s0, s10, v0
	s_wait_alu 0xf1ff
	s_delay_alu instid0(VALU_DEP_2)
	v_add_co_ci_u32_e64 v36, s0, s11, v1, s0
	s_clause 0x1
	global_load_b128 v[0:3], v[35:36], off
	global_load_b64 v[35:36], v[35:36], off offset:16
	s_wait_loadcnt_dscnt 0x302
	v_dual_mul_f32 v52, v16, v5 :: v_dual_mul_f32 v53, v19, v7
	v_dual_mul_f32 v51, v17, v5 :: v_dual_mul_f32 v54, v18, v7
	s_wait_loadcnt_dscnt 0x200
	s_delay_alu instid0(VALU_DEP_2) | instskip(NEXT) | instid1(VALU_DEP_3)
	v_dual_mul_f32 v55, v44, v38 :: v_dual_fmac_f32 v52, v17, v4
	v_fma_f32 v17, v18, v6, -v53
	v_mul_f32_e32 v56, v43, v38
	v_fma_f32 v16, v16, v4, -v51
	s_delay_alu instid0(VALU_DEP_4) | instskip(NEXT) | instid1(VALU_DEP_4)
	v_fma_f32 v18, v43, v37, -v55
	v_sub_f32_e32 v17, v41, v17
	s_delay_alu instid0(VALU_DEP_4) | instskip(SKIP_1) | instid1(VALU_DEP_3)
	v_fmac_f32_e32 v56, v44, v37
	v_fmac_f32_e32 v54, v19, v6
	v_fma_f32 v53, v41, 2.0, -v17
	s_delay_alu instid0(VALU_DEP_3) | instskip(NEXT) | instid1(VALU_DEP_3)
	v_sub_f32_e32 v43, v52, v56
	v_sub_f32_e32 v19, v42, v54
	;; [unrolled: 1-line block ×3, first 2 shown]
	s_wait_loadcnt 0x1
	v_mul_f32_e32 v55, v12, v3
	v_sub_f32_e32 v41, v17, v43
	v_fma_f32 v54, v42, 2.0, -v19
	v_add_f32_e32 v42, v19, v18
	v_fma_f32 v16, v16, 2.0, -v18
	v_fma_f32 v44, v52, 2.0, -v43
	v_dual_mul_f32 v51, v11, v1 :: v_dual_mul_f32 v52, v13, v3
	s_delay_alu instid0(VALU_DEP_3)
	v_dual_mul_f32 v18, v10, v1 :: v_dual_sub_f32 v43, v53, v16
	s_wait_loadcnt 0x0
	v_dual_mul_f32 v56, v15, v36 :: v_dual_fmac_f32 v55, v13, v2
	v_mul_f32_e32 v57, v14, v36
	v_fma_f32 v10, v10, v0, -v51
	v_fmac_f32_e32 v18, v11, v0
	v_fma_f32 v11, v12, v2, -v52
	v_fma_f32 v13, v14, v35, -v56
	v_sub_f32_e32 v12, v9, v55
	v_dual_sub_f32 v44, v54, v44 :: v_dual_fmac_f32 v57, v15, v35
	s_delay_alu instid0(VALU_DEP_4) | instskip(SKIP_2) | instid1(VALU_DEP_4)
	v_sub_f32_e32 v11, v8, v11
	v_fma_f32 v51, v17, 2.0, -v41
	v_fma_f32 v53, v53, 2.0, -v43
	;; [unrolled: 1-line block ×3, first 2 shown]
	v_sub_f32_e32 v14, v18, v57
	v_sub_f32_e32 v13, v10, v13
	v_fma_f32 v52, v19, 2.0, -v42
	ds_store_b64 v47, v[53:54]
	ds_store_2addr_b64 v46, v[51:52], v[43:44] offset0:7 offset1:14
	ds_store_b64 v46, v[41:42] offset:168
	v_dual_sub_f32 v16, v11, v14 :: v_dual_add_f32 v17, v12, v13
	s_and_saveexec_b32 s0, vcc_lo
	s_cbranch_execz .LBB0_5
; %bb.4:
	v_fma_f32 v15, v9, 2.0, -v12
	v_fma_f32 v9, v18, 2.0, -v14
	;; [unrolled: 1-line block ×6, first 2 shown]
	s_delay_alu instid0(VALU_DEP_3) | instskip(NEXT) | instid1(VALU_DEP_1)
	v_dual_sub_f32 v9, v15, v9 :: v_dual_sub_f32 v8, v18, v8
	v_fma_f32 v14, v15, 2.0, -v9
	s_delay_alu instid0(VALU_DEP_2)
	v_fma_f32 v13, v18, 2.0, -v8
	ds_store_2addr_b64 v46, v[13:14], v[11:12] offset0:4 offset1:11
	ds_store_2addr_b64 v46, v[8:9], v[16:17] offset0:18 offset1:25
.LBB0_5:
	s_wait_alu 0xfffe
	s_or_b32 exec_lo, exec_lo, s0
	global_wb scope:SCOPE_SE
	s_wait_dscnt 0x0
	s_barrier_signal -1
	s_barrier_wait -1
	global_inv scope:SCOPE_SE
	global_load_b64 v[8:9], v[39:40], off offset:224
	s_add_nc_u64 s[0:1], s[8:9], 0xe0
	s_clause 0x5
	global_load_b64 v[18:19], v48, s[0:1] offset:32
	global_load_b64 v[39:40], v48, s[0:1] offset:64
	;; [unrolled: 1-line block ×6, first 2 shown]
	ds_load_b64 v[10:11], v47
	v_lshl_add_u32 v43, v50, 3, v48
	s_wait_loadcnt_dscnt 0x600
	v_mul_f32_e32 v12, v11, v9
	v_mul_f32_e32 v13, v10, v9
	s_delay_alu instid0(VALU_DEP_2) | instskip(NEXT) | instid1(VALU_DEP_2)
	v_fma_f32 v12, v10, v8, -v12
	v_fmac_f32_e32 v13, v11, v8
	ds_store_b64 v47, v[12:13]
	ds_load_b64 v[57:58], v43 offset:32
	ds_load_2addr_b64 v[8:11], v46 offset0:8 offset1:12
	ds_load_2addr_b64 v[12:15], v46 offset0:16 offset1:20
	ds_load_b64 v[59:60], v46 offset:192
	s_wait_loadcnt_dscnt 0x503
	v_mul_f32_e32 v44, v58, v19
	v_mul_f32_e32 v62, v57, v19
	s_wait_loadcnt_dscnt 0x402
	v_mul_f32_e32 v48, v9, v40
	s_wait_loadcnt 0x3
	v_dual_mul_f32 v19, v8, v40 :: v_dual_mul_f32 v50, v11, v42
	s_wait_loadcnt_dscnt 0x201
	v_dual_mul_f32 v63, v13, v52 :: v_dual_mul_f32 v40, v10, v42
	s_wait_loadcnt_dscnt 0x0
	v_mul_f32_e32 v65, v60, v56
	v_dual_mul_f32 v42, v12, v52 :: v_dual_fmac_f32 v19, v9, v39
	v_mul_f32_e32 v64, v15, v54
	v_mul_f32_e32 v52, v14, v54
	;; [unrolled: 1-line block ×3, first 2 shown]
	v_fma_f32 v61, v57, v18, -v44
	v_fmac_f32_e32 v62, v58, v18
	v_fma_f32 v18, v8, v39, -v48
	v_fma_f32 v39, v10, v41, -v50
	v_fmac_f32_e32 v40, v11, v41
	v_fma_f32 v41, v12, v51, -v63
	v_fmac_f32_e32 v42, v13, v51
	;; [unrolled: 2-line block ×4, first 2 shown]
	ds_store_2addr_b64 v46, v[18:19], v[39:40] offset0:8 offset1:12
	ds_store_2addr_b64 v46, v[41:42], v[51:52] offset0:16 offset1:20
	ds_store_b64 v43, v[61:62] offset:32
	ds_store_b64 v46, v[53:54] offset:192
	global_wb scope:SCOPE_SE
	s_wait_dscnt 0x0
	s_barrier_signal -1
	s_barrier_wait -1
	global_inv scope:SCOPE_SE
	ds_load_b64 v[18:19], v43 offset:32
	ds_load_b64 v[39:40], v46 offset:192
	ds_load_2addr_b64 v[8:11], v46 offset0:8 offset1:12
	ds_load_2addr_b64 v[12:15], v46 offset0:16 offset1:20
	ds_load_b64 v[41:42], v47
	global_wb scope:SCOPE_SE
	s_wait_dscnt 0x0
	s_barrier_signal -1
	s_barrier_wait -1
	global_inv scope:SCOPE_SE
	v_add_f32_e32 v48, v19, v40
	v_dual_sub_f32 v19, v19, v40 :: v_dual_add_f32 v40, v9, v15
	v_sub_f32_e32 v9, v9, v15
	v_add_f32_e32 v15, v11, v13
	v_sub_f32_e32 v11, v13, v11
	s_delay_alu instid0(VALU_DEP_1) | instskip(SKIP_3) | instid1(VALU_DEP_4)
	v_dual_add_f32 v44, v18, v39 :: v_dual_sub_f32 v55, v11, v9
	v_add_f32_e32 v53, v11, v9
	v_sub_f32_e32 v9, v9, v19
	v_sub_f32_e32 v11, v19, v11
	v_mul_f32_e32 v55, 0x3f08b237, v55
	s_delay_alu instid0(VALU_DEP_4) | instskip(NEXT) | instid1(VALU_DEP_4)
	v_add_f32_e32 v19, v53, v19
	v_mul_f32_e32 v57, 0xbf5ff5aa, v9
	v_dual_add_f32 v13, v40, v48 :: v_dual_sub_f32 v18, v18, v39
	v_add_f32_e32 v39, v8, v14
	v_sub_f32_e32 v8, v8, v14
	v_add_f32_e32 v14, v10, v12
	v_sub_f32_e32 v51, v40, v48
	v_sub_f32_e32 v40, v15, v40
	;; [unrolled: 1-line block ×3, first 2 shown]
	v_add_f32_e32 v12, v39, v44
	v_dual_sub_f32 v48, v48, v15 :: v_dual_add_f32 v15, v15, v13
	v_fma_f32 v9, 0xbf5ff5aa, v9, -v55
	v_sub_f32_e32 v50, v39, v44
	v_mul_f32_e32 v53, 0x3d64c772, v40
	v_sub_f32_e32 v54, v10, v8
	v_add_f32_e32 v13, v42, v15
	v_fmac_f32_e32 v9, 0xbee1c552, v19
	v_mul_f32_e32 v48, 0x3f4a47b2, v48
	v_dual_sub_f32 v44, v44, v14 :: v_dual_sub_f32 v39, v14, v39
	s_delay_alu instid0(VALU_DEP_4) | instskip(NEXT) | instid1(VALU_DEP_3)
	v_dual_add_f32 v52, v10, v8 :: v_dual_fmamk_f32 v15, v15, 0xbf955555, v13
	v_fmamk_f32 v40, v40, 0x3d64c772, v48
	v_add_f32_e32 v14, v14, v12
	v_fma_f32 v42, 0x3f3bfb3b, v51, -v53
	v_fma_f32 v48, 0xbf3bfb3b, v51, -v48
	v_fmamk_f32 v51, v11, 0xbeae86e6, v55
	v_dual_add_f32 v53, v40, v15 :: v_dual_mul_f32 v44, 0x3f4a47b2, v44
	v_add_f32_e32 v12, v41, v14
	v_fma_f32 v11, 0x3eae86e6, v11, -v57
	v_sub_f32_e32 v10, v18, v10
	v_dual_sub_f32 v8, v8, v18 :: v_dual_fmac_f32 v51, 0xbee1c552, v19
	s_delay_alu instid0(VALU_DEP_4) | instskip(NEXT) | instid1(VALU_DEP_4)
	v_fmamk_f32 v14, v14, 0xbf955555, v12
	v_fmac_f32_e32 v11, 0xbee1c552, v19
	v_dual_add_f32 v19, v42, v15 :: v_dual_add_f32 v18, v52, v18
	v_dual_mul_f32 v52, 0x3d64c772, v39 :: v_dual_fmamk_f32 v39, v39, 0x3d64c772, v44
	v_fma_f32 v44, 0xbf3bfb3b, v50, -v44
	v_add_f32_e32 v48, v48, v15
	v_mul_f32_e32 v54, 0x3f08b237, v54
	s_delay_alu instid0(VALU_DEP_4) | instskip(SKIP_2) | instid1(VALU_DEP_1)
	v_fma_f32 v41, 0x3f3bfb3b, v50, -v52
	v_add_f32_e32 v52, v39, v14
	v_add_f32_e32 v44, v44, v14
	v_dual_fmamk_f32 v50, v10, 0xbeae86e6, v54 :: v_dual_add_f32 v39, v11, v44
	s_delay_alu instid0(VALU_DEP_1) | instskip(SKIP_2) | instid1(VALU_DEP_3)
	v_fmac_f32_e32 v50, 0xbee1c552, v18
	v_mul_f32_e32 v56, 0xbf5ff5aa, v8
	v_fma_f32 v8, 0xbf5ff5aa, v8, -v54
	v_sub_f32_e32 v15, v53, v50
	s_delay_alu instid0(VALU_DEP_2) | instskip(NEXT) | instid1(VALU_DEP_1)
	v_fmac_f32_e32 v8, 0xbee1c552, v18
	v_dual_add_f32 v42, v8, v19 :: v_dual_sub_f32 v19, v19, v8
	v_dual_sub_f32 v8, v44, v11 :: v_dual_add_f32 v11, v50, v53
	v_fma_f32 v10, 0x3eae86e6, v10, -v56
	s_delay_alu instid0(VALU_DEP_1) | instskip(SKIP_2) | instid1(VALU_DEP_2)
	v_fmac_f32_e32 v10, 0xbee1c552, v18
	v_add_f32_e32 v18, v41, v14
	v_add_f32_e32 v14, v52, v51
	v_dual_sub_f32 v40, v48, v10 :: v_dual_sub_f32 v41, v18, v9
	v_dual_add_f32 v18, v9, v18 :: v_dual_add_f32 v9, v10, v48
	v_sub_f32_e32 v10, v52, v51
	ds_store_2addr_b64 v49, v[12:13], v[14:15] offset1:1
	ds_store_2addr_b64 v49, v[39:40], v[41:42] offset0:2 offset1:3
	ds_store_2addr_b64 v49, v[18:19], v[8:9] offset0:4 offset1:5
	ds_store_b64 v49, v[10:11] offset:48
	global_wb scope:SCOPE_SE
	s_wait_dscnt 0x0
	s_barrier_signal -1
	s_barrier_wait -1
	global_inv scope:SCOPE_SE
	ds_load_2addr_b64 v[12:15], v46 offset0:7 offset1:14
	ds_load_b64 v[39:40], v47
	ds_load_b64 v[41:42], v46 offset:168
	s_and_saveexec_b32 s0, vcc_lo
	s_cbranch_execz .LBB0_7
; %bb.6:
	ds_load_2addr_b64 v[8:11], v46 offset0:11 offset1:18
	ds_load_b64 v[18:19], v43 offset:32
	ds_load_b64 v[16:17], v46 offset:200
.LBB0_7:
	s_wait_alu 0xfffe
	s_or_b32 exec_lo, exec_lo, s0
	s_wait_dscnt 0x2
	v_mul_f32_e32 v44, v5, v13
	v_dual_mul_f32 v5, v5, v12 :: v_dual_mul_f32 v48, v7, v15
	v_mul_f32_e32 v7, v7, v14
	s_wait_dscnt 0x0
	s_delay_alu instid0(VALU_DEP_3) | instskip(NEXT) | instid1(VALU_DEP_3)
	v_dual_mul_f32 v49, v38, v42 :: v_dual_fmac_f32 v44, v4, v12
	v_fma_f32 v4, v4, v13, -v5
	v_fmac_f32_e32 v48, v6, v14
	v_fma_f32 v5, v6, v15, -v7
	s_delay_alu instid0(VALU_DEP_2) | instskip(NEXT) | instid1(VALU_DEP_2)
	v_dual_fmac_f32 v49, v37, v41 :: v_dual_sub_f32 v14, v39, v48
	v_sub_f32_e32 v15, v40, v5
	s_delay_alu instid0(VALU_DEP_2) | instskip(SKIP_1) | instid1(VALU_DEP_3)
	v_sub_f32_e32 v7, v44, v49
	v_mul_f32_e32 v12, v38, v41
	v_fma_f32 v13, v40, 2.0, -v15
	s_delay_alu instid0(VALU_DEP_3) | instskip(SKIP_1) | instid1(VALU_DEP_4)
	v_fma_f32 v5, v44, 2.0, -v7
	v_sub_f32_e32 v7, v15, v7
	v_fma_f32 v6, v37, v42, -v12
	v_fma_f32 v12, v39, 2.0, -v14
	s_delay_alu instid0(VALU_DEP_3) | instskip(NEXT) | instid1(VALU_DEP_3)
	v_fma_f32 v15, v15, 2.0, -v7
	v_sub_f32_e32 v6, v4, v6
	s_delay_alu instid0(VALU_DEP_1) | instskip(NEXT) | instid1(VALU_DEP_4)
	v_fma_f32 v37, v4, 2.0, -v6
	v_sub_f32_e32 v4, v12, v5
	s_delay_alu instid0(VALU_DEP_2) | instskip(NEXT) | instid1(VALU_DEP_2)
	v_dual_sub_f32 v5, v13, v37 :: v_dual_add_f32 v6, v14, v6
	v_fma_f32 v12, v12, 2.0, -v4
	s_delay_alu instid0(VALU_DEP_2) | instskip(NEXT) | instid1(VALU_DEP_3)
	v_fma_f32 v13, v13, 2.0, -v5
	v_fma_f32 v14, v14, 2.0, -v6
	ds_store_b64 v47, v[12:13]
	ds_store_2addr_b64 v46, v[14:15], v[4:5] offset0:7 offset1:14
	ds_store_b64 v46, v[6:7] offset:168
	s_and_saveexec_b32 s0, vcc_lo
	s_cbranch_execz .LBB0_9
; %bb.8:
	v_dual_mul_f32 v4, v3, v10 :: v_dual_mul_f32 v5, v1, v9
	v_dual_mul_f32 v3, v3, v11 :: v_dual_mul_f32 v6, v36, v16
	s_delay_alu instid0(VALU_DEP_2) | instskip(NEXT) | instid1(VALU_DEP_3)
	v_fma_f32 v4, v2, v11, -v4
	v_fmac_f32_e32 v5, v0, v8
	s_delay_alu instid0(VALU_DEP_3) | instskip(SKIP_1) | instid1(VALU_DEP_4)
	v_fmac_f32_e32 v3, v2, v10
	v_mul_f32_e32 v1, v1, v8
	v_dual_mul_f32 v7, v36, v17 :: v_dual_sub_f32 v4, v19, v4
	s_delay_alu instid0(VALU_DEP_2) | instskip(SKIP_1) | instid1(VALU_DEP_1)
	v_fma_f32 v0, v0, v9, -v1
	v_fma_f32 v1, v35, v17, -v6
	v_sub_f32_e32 v2, v0, v1
	v_sub_f32_e32 v6, v18, v3
	s_delay_alu instid0(VALU_DEP_2) | instskip(NEXT) | instid1(VALU_DEP_2)
	v_fma_f32 v3, v0, 2.0, -v2
	v_fma_f32 v8, v18, 2.0, -v6
	v_dual_fmac_f32 v7, v35, v16 :: v_dual_add_f32 v0, v6, v2
	s_delay_alu instid0(VALU_DEP_1) | instskip(SKIP_1) | instid1(VALU_DEP_2)
	v_sub_f32_e32 v1, v5, v7
	v_fma_f32 v7, v19, 2.0, -v4
	v_fma_f32 v5, v5, 2.0, -v1
	v_sub_f32_e32 v1, v4, v1
	s_delay_alu instid0(VALU_DEP_2) | instskip(NEXT) | instid1(VALU_DEP_2)
	v_dual_sub_f32 v3, v7, v3 :: v_dual_sub_f32 v2, v8, v5
	v_fma_f32 v5, v4, 2.0, -v1
	v_fma_f32 v4, v6, 2.0, -v0
	s_delay_alu instid0(VALU_DEP_3) | instskip(NEXT) | instid1(VALU_DEP_4)
	v_fma_f32 v7, v7, 2.0, -v3
	v_fma_f32 v6, v8, 2.0, -v2
	ds_store_2addr_b64 v46, v[4:5], v[2:3] offset0:11 offset1:18
	ds_store_b64 v43, v[6:7] offset:32
	ds_store_b64 v46, v[0:1] offset:200
.LBB0_9:
	s_wait_alu 0xfffe
	s_or_b32 exec_lo, exec_lo, s0
	global_wb scope:SCOPE_SE
	s_wait_dscnt 0x0
	s_barrier_signal -1
	s_barrier_wait -1
	global_inv scope:SCOPE_SE
	ds_load_b64 v[8:9], v47
	ds_load_b64 v[10:11], v43 offset:32
	ds_load_2addr_b64 v[0:3], v46 offset0:8 offset1:12
	ds_load_2addr_b64 v[4:7], v46 offset0:16 offset1:20
	ds_load_b64 v[12:13], v46 offset:192
	s_mov_b32 s0, 0x92492492
	s_mov_b32 s1, 0x3fa24924
	s_wait_dscnt 0x3
	v_dual_mul_f32 v14, v22, v9 :: v_dual_mul_f32 v17, v24, v10
	s_wait_dscnt 0x2
	v_mul_f32_e32 v18, v26, v1
	s_wait_dscnt 0x1
	v_dual_mul_f32 v19, v26, v0 :: v_dual_mul_f32 v26, v28, v5
	v_dual_mul_f32 v15, v22, v8 :: v_dual_mul_f32 v16, v24, v11
	v_mul_f32_e32 v24, v30, v2
	v_fmac_f32_e32 v18, v25, v0
	s_delay_alu instid0(VALU_DEP_4)
	v_fmac_f32_e32 v26, v27, v4
	v_mul_f32_e32 v4, v28, v4
	v_fmac_f32_e32 v16, v23, v10
	v_fma_f32 v10, v23, v11, -v17
	v_fma_f32 v17, v25, v1, -v19
	v_mul_f32_e32 v25, v32, v7
	v_mul_f32_e32 v22, v30, v3
	v_fmac_f32_e32 v14, v21, v8
	v_fma_f32 v8, v21, v9, -v15
	v_fma_f32 v21, v29, v3, -v24
	v_fmac_f32_e32 v25, v31, v6
	v_cvt_f64_f32_e32 v[23:24], v26
	v_mul_f32_e32 v26, v32, v6
	v_fmac_f32_e32 v22, v29, v2
	s_wait_dscnt 0x0
	v_mul_f32_e32 v28, v34, v13
	v_mul_f32_e32 v29, v34, v12
	v_fma_f32 v4, v27, v5, -v4
	v_cvt_f64_f32_e32 v[0:1], v14
	v_cvt_f64_f32_e32 v[2:3], v8
	v_fma_f32 v26, v31, v7, -v26
	v_cvt_f64_f32_e32 v[8:9], v16
	v_cvt_f64_f32_e32 v[10:11], v10
	v_fmac_f32_e32 v28, v33, v12
	v_fma_f32 v27, v33, v13, -v29
	v_cvt_f64_f32_e32 v[14:15], v18
	v_cvt_f64_f32_e32 v[16:17], v17
	;; [unrolled: 1-line block ×9, first 2 shown]
	v_mad_co_u64_u32 v[29:30], null, s6, v20, 0
	v_mad_co_u64_u32 v[31:32], null, s4, v45, 0
	s_delay_alu instid0(VALU_DEP_1) | instskip(SKIP_2) | instid1(VALU_DEP_2)
	v_mad_co_u64_u32 v[33:34], null, s7, v20, v[30:31]
	s_wait_alu 0xfffe
	v_mul_f64_e32 v[23:24], s[0:1], v[23:24]
	v_mad_co_u64_u32 v[34:35], null, s5, v45, v[32:33]
	v_mov_b32_e32 v30, v33
	v_mul_f64_e32 v[0:1], s[0:1], v[0:1]
	v_mul_f64_e32 v[2:3], s[0:1], v[2:3]
	;; [unrolled: 1-line block ×4, first 2 shown]
	v_mov_b32_e32 v32, v34
	v_lshlrev_b64_e32 v[29:30], 3, v[29:30]
	v_mul_f64_e32 v[14:15], s[0:1], v[14:15]
	v_mul_f64_e32 v[16:17], s[0:1], v[16:17]
	;; [unrolled: 1-line block ×9, first 2 shown]
	v_lshlrev_b64_e32 v[31:32], 3, v[31:32]
	v_add_co_u32 v20, vcc_lo, s2, v29
	s_wait_alu 0xfffd
	v_add_co_ci_u32_e32 v29, vcc_lo, s3, v30, vcc_lo
	s_lshl_b64 s[0:1], s[4:5], 5
	v_cvt_f32_f64_e32 v0, v[0:1]
	v_cvt_f32_f64_e32 v1, v[2:3]
	;; [unrolled: 1-line block ×14, first 2 shown]
	v_add_co_u32 v12, vcc_lo, v20, v31
	s_wait_alu 0xfffd
	v_add_co_ci_u32_e32 v13, vcc_lo, v29, v32, vcc_lo
	s_wait_alu 0xfffe
	s_delay_alu instid0(VALU_DEP_2) | instskip(SKIP_1) | instid1(VALU_DEP_2)
	v_add_co_u32 v16, vcc_lo, v12, s0
	s_wait_alu 0xfffd
	v_add_co_ci_u32_e32 v17, vcc_lo, s1, v13, vcc_lo
	s_delay_alu instid0(VALU_DEP_2) | instskip(SKIP_1) | instid1(VALU_DEP_2)
	v_add_co_u32 v18, vcc_lo, v16, s0
	s_wait_alu 0xfffd
	v_add_co_ci_u32_e32 v19, vcc_lo, s1, v17, vcc_lo
	;; [unrolled: 4-line block ×6, first 2 shown]
	s_clause 0x4
	global_store_b64 v[12:13], v[0:1], off
	global_store_b64 v[16:17], v[2:3], off
	;; [unrolled: 1-line block ×7, first 2 shown]
.LBB0_10:
	s_nop 0
	s_sendmsg sendmsg(MSG_DEALLOC_VGPRS)
	s_endpgm
	.section	.rodata,"a",@progbits
	.p2align	6, 0x0
	.amdhsa_kernel bluestein_single_fwd_len28_dim1_sp_op_CI_CI
		.amdhsa_group_segment_fixed_size 3584
		.amdhsa_private_segment_fixed_size 0
		.amdhsa_kernarg_size 104
		.amdhsa_user_sgpr_count 2
		.amdhsa_user_sgpr_dispatch_ptr 0
		.amdhsa_user_sgpr_queue_ptr 0
		.amdhsa_user_sgpr_kernarg_segment_ptr 1
		.amdhsa_user_sgpr_dispatch_id 0
		.amdhsa_user_sgpr_private_segment_size 0
		.amdhsa_wavefront_size32 1
		.amdhsa_uses_dynamic_stack 0
		.amdhsa_enable_private_segment 0
		.amdhsa_system_sgpr_workgroup_id_x 1
		.amdhsa_system_sgpr_workgroup_id_y 0
		.amdhsa_system_sgpr_workgroup_id_z 0
		.amdhsa_system_sgpr_workgroup_info 0
		.amdhsa_system_vgpr_workitem_id 0
		.amdhsa_next_free_vgpr 66
		.amdhsa_next_free_sgpr 20
		.amdhsa_reserve_vcc 1
		.amdhsa_float_round_mode_32 0
		.amdhsa_float_round_mode_16_64 0
		.amdhsa_float_denorm_mode_32 3
		.amdhsa_float_denorm_mode_16_64 3
		.amdhsa_fp16_overflow 0
		.amdhsa_workgroup_processor_mode 1
		.amdhsa_memory_ordered 1
		.amdhsa_forward_progress 0
		.amdhsa_round_robin_scheduling 0
		.amdhsa_exception_fp_ieee_invalid_op 0
		.amdhsa_exception_fp_denorm_src 0
		.amdhsa_exception_fp_ieee_div_zero 0
		.amdhsa_exception_fp_ieee_overflow 0
		.amdhsa_exception_fp_ieee_underflow 0
		.amdhsa_exception_fp_ieee_inexact 0
		.amdhsa_exception_int_div_zero 0
	.end_amdhsa_kernel
	.text
.Lfunc_end0:
	.size	bluestein_single_fwd_len28_dim1_sp_op_CI_CI, .Lfunc_end0-bluestein_single_fwd_len28_dim1_sp_op_CI_CI
                                        ; -- End function
	.section	.AMDGPU.csdata,"",@progbits
; Kernel info:
; codeLenInByte = 4344
; NumSgprs: 22
; NumVgprs: 66
; ScratchSize: 0
; MemoryBound: 0
; FloatMode: 240
; IeeeMode: 1
; LDSByteSize: 3584 bytes/workgroup (compile time only)
; SGPRBlocks: 2
; VGPRBlocks: 8
; NumSGPRsForWavesPerEU: 22
; NumVGPRsForWavesPerEU: 66
; Occupancy: 16
; WaveLimiterHint : 1
; COMPUTE_PGM_RSRC2:SCRATCH_EN: 0
; COMPUTE_PGM_RSRC2:USER_SGPR: 2
; COMPUTE_PGM_RSRC2:TRAP_HANDLER: 0
; COMPUTE_PGM_RSRC2:TGID_X_EN: 1
; COMPUTE_PGM_RSRC2:TGID_Y_EN: 0
; COMPUTE_PGM_RSRC2:TGID_Z_EN: 0
; COMPUTE_PGM_RSRC2:TIDIG_COMP_CNT: 0
	.text
	.p2alignl 7, 3214868480
	.fill 96, 4, 3214868480
	.type	__hip_cuid_c464a632b181af7f,@object ; @__hip_cuid_c464a632b181af7f
	.section	.bss,"aw",@nobits
	.globl	__hip_cuid_c464a632b181af7f
__hip_cuid_c464a632b181af7f:
	.byte	0                               ; 0x0
	.size	__hip_cuid_c464a632b181af7f, 1

	.ident	"AMD clang version 19.0.0git (https://github.com/RadeonOpenCompute/llvm-project roc-6.4.0 25133 c7fe45cf4b819c5991fe208aaa96edf142730f1d)"
	.section	".note.GNU-stack","",@progbits
	.addrsig
	.addrsig_sym __hip_cuid_c464a632b181af7f
	.amdgpu_metadata
---
amdhsa.kernels:
  - .args:
      - .actual_access:  read_only
        .address_space:  global
        .offset:         0
        .size:           8
        .value_kind:     global_buffer
      - .actual_access:  read_only
        .address_space:  global
        .offset:         8
        .size:           8
        .value_kind:     global_buffer
      - .actual_access:  read_only
        .address_space:  global
        .offset:         16
        .size:           8
        .value_kind:     global_buffer
      - .actual_access:  read_only
        .address_space:  global
        .offset:         24
        .size:           8
        .value_kind:     global_buffer
      - .actual_access:  read_only
        .address_space:  global
        .offset:         32
        .size:           8
        .value_kind:     global_buffer
      - .offset:         40
        .size:           8
        .value_kind:     by_value
      - .address_space:  global
        .offset:         48
        .size:           8
        .value_kind:     global_buffer
      - .address_space:  global
        .offset:         56
        .size:           8
        .value_kind:     global_buffer
      - .address_space:  global
        .offset:         64
        .size:           8
        .value_kind:     global_buffer
      - .address_space:  global
        .offset:         72
        .size:           8
        .value_kind:     global_buffer
      - .offset:         80
        .size:           4
        .value_kind:     by_value
      - .address_space:  global
        .offset:         88
        .size:           8
        .value_kind:     global_buffer
      - .address_space:  global
        .offset:         96
        .size:           8
        .value_kind:     global_buffer
    .group_segment_fixed_size: 3584
    .kernarg_segment_align: 8
    .kernarg_segment_size: 104
    .language:       OpenCL C
    .language_version:
      - 2
      - 0
    .max_flat_workgroup_size: 64
    .name:           bluestein_single_fwd_len28_dim1_sp_op_CI_CI
    .private_segment_fixed_size: 0
    .sgpr_count:     22
    .sgpr_spill_count: 0
    .symbol:         bluestein_single_fwd_len28_dim1_sp_op_CI_CI.kd
    .uniform_work_group_size: 1
    .uses_dynamic_stack: false
    .vgpr_count:     66
    .vgpr_spill_count: 0
    .wavefront_size: 32
    .workgroup_processor_mode: 1
amdhsa.target:   amdgcn-amd-amdhsa--gfx1201
amdhsa.version:
  - 1
  - 2
...

	.end_amdgpu_metadata
